;; amdgpu-corpus repo=zjin-lcf/HeCBench kind=compiled arch=gfx1100 opt=O3
	.text
	.amdgcn_target "amdgcn-amd-amdhsa--gfx1100"
	.amdhsa_code_object_version 6
	.protected	_Z22FP8TrtAddQKVBiasKernel21FP8TrtAddQKVBiasParamI19__hip_fp8_e4m3_fnuz14__hip_bfloat16E ; -- Begin function _Z22FP8TrtAddQKVBiasKernel21FP8TrtAddQKVBiasParamI19__hip_fp8_e4m3_fnuz14__hip_bfloat16E
	.globl	_Z22FP8TrtAddQKVBiasKernel21FP8TrtAddQKVBiasParamI19__hip_fp8_e4m3_fnuz14__hip_bfloat16E
	.p2align	8
	.type	_Z22FP8TrtAddQKVBiasKernel21FP8TrtAddQKVBiasParamI19__hip_fp8_e4m3_fnuz14__hip_bfloat16E,@function
_Z22FP8TrtAddQKVBiasKernel21FP8TrtAddQKVBiasParamI19__hip_fp8_e4m3_fnuz14__hip_bfloat16E: ; @_Z22FP8TrtAddQKVBiasKernel21FP8TrtAddQKVBiasParamI19__hip_fp8_e4m3_fnuz14__hip_bfloat16E
; %bb.0:
	s_clause 0x1
	s_load_b64 s[12:13], s[0:1], 0x30
	s_load_b256 s[4:11], s[0:1], 0x0
	v_bfe_u32 v7, v0, 20, 10
	v_bfe_u32 v8, v0, 10, 10
	v_and_b32_e32 v0, 0x3ff, v0
	s_waitcnt lgkmcnt(0)
	s_mul_i32 s2, s15, s13
	s_delay_alu instid0(SALU_CYCLE_1) | instskip(NEXT) | instid1(SALU_CYCLE_1)
	s_mul_i32 s2, s2, 3
	s_add_u32 s6, s6, s2
	s_addc_u32 s7, s7, 0
	s_ashr_i32 s3, s13, 31
	s_ashr_i32 s14, s12, 31
	s_lshr_b32 s3, s3, 30
	s_lshr_b32 s14, s14, 30
	s_add_i32 s3, s13, s3
	s_add_i32 s12, s12, s14
	s_ashr_i32 s13, s3, 2
	s_ashr_i32 s3, s12, 2
	v_mul_lo_u32 v1, s13, v7
	v_mul_lo_u32 v2, s3, v8
	s_delay_alu instid0(VALU_DEP_1) | instskip(NEXT) | instid1(VALU_DEP_1)
	v_add3_u32 v1, v2, v0, v1
	v_ashrrev_i32_e32 v2, 31, v1
	s_delay_alu instid0(VALU_DEP_1) | instskip(NEXT) | instid1(VALU_DEP_1)
	v_lshlrev_b64 v[2:3], 2, v[1:2]
	v_add_co_u32 v2, vcc_lo, s6, v2
	s_delay_alu instid0(VALU_DEP_2) | instskip(SKIP_4) | instid1(VALU_DEP_1)
	v_add_co_ci_u32_e32 v3, vcc_lo, s7, v3, vcc_lo
	s_mov_b32 s6, exec_lo
	global_load_b32 v9, v[2:3], off
	s_waitcnt vmcnt(0)
	v_dual_mov_b32 v2, 0 :: v_dual_and_b32 v3, 0xff, v9
	v_cmpx_ne_u16_e32 0, v3
	s_cbranch_execz .LBB0_6
; %bb.1:
	v_mov_b32_e32 v2, 0x7f800001
	s_mov_b32 s7, exec_lo
	v_cmpx_ne_u16_e32 0x80, v3
	s_cbranch_execz .LBB0_5
; %bb.2:
	v_bfe_u32 v4, v9, 3, 4
	v_dual_mov_b32 v3, 0 :: v_dual_and_b32 v2, 7, v9
	s_mov_b32 s12, exec_lo
	s_delay_alu instid0(VALU_DEP_2)
	v_cmpx_eq_u32_e32 0, v4
; %bb.3:
	s_delay_alu instid0(VALU_DEP_2) | instskip(NEXT) | instid1(VALU_DEP_1)
	v_clz_i32_u32_e32 v4, v2
	v_min_u32_e32 v4, 32, v4
	s_delay_alu instid0(VALU_DEP_1) | instskip(SKIP_1) | instid1(VALU_DEP_2)
	v_subrev_nc_u32_e32 v5, 28, v4
	v_sub_nc_u32_e32 v4, 29, v4
	v_lshlrev_b64 v[2:3], v5, v[2:3]
	s_delay_alu instid0(VALU_DEP_1)
	v_and_b32_e32 v2, 7, v2
; %bb.4:
	s_or_b32 exec_lo, exec_lo, s12
	v_lshlrev_b32_e32 v3, 24, v9
	s_delay_alu instid0(VALU_DEP_2) | instskip(SKIP_1) | instid1(VALU_DEP_3)
	v_lshlrev_b32_e32 v2, 20, v2
	v_lshl_add_u32 v4, v4, 23, 0x3b800000
	v_and_b32_e32 v3, 0x80000000, v3
	s_delay_alu instid0(VALU_DEP_1)
	v_or3_b32 v2, v2, v3, v4
.LBB0_5:
	s_or_b32 exec_lo, exec_lo, s7
.LBB0_6:
	s_delay_alu instid0(SALU_CYCLE_1) | instskip(NEXT) | instid1(VALU_DEP_1)
	s_or_b32 exec_lo, exec_lo, s6
	v_and_b32_e32 v3, 0x7f800000, v2
	s_mov_b32 s6, exec_lo
                                        ; implicit-def: $vgpr5
	s_delay_alu instid0(VALU_DEP_1)
	v_cmpx_ne_u32_e32 0x7f800000, v3
	s_xor_b32 s6, exec_lo, s6
; %bb.7:
	v_bfe_u32 v3, v2, 16, 1
	s_delay_alu instid0(VALU_DEP_1)
	v_add3_u32 v5, v2, v3, 0x7fff
                                        ; implicit-def: $vgpr2
; %bb.8:
	s_and_not1_saveexec_b32 s6, s6
; %bb.9:
	v_and_b32_e32 v3, 0xffff, v2
	v_or_b32_e32 v4, 0x10000, v2
	s_delay_alu instid0(VALU_DEP_2) | instskip(NEXT) | instid1(VALU_DEP_2)
	v_cmp_eq_u32_e32 vcc_lo, 0, v3
	v_cndmask_b32_e32 v5, v4, v2, vcc_lo
; %bb.10:
	s_or_b32 exec_lo, exec_lo, s6
	v_lshrrev_b32_e32 v2, 8, v9
	s_mov_b32 s6, exec_lo
	s_delay_alu instid0(VALU_DEP_1) | instskip(NEXT) | instid1(VALU_DEP_1)
	v_dual_mov_b32 v2, 0 :: v_dual_and_b32 v3, 0xff, v2
	v_cmpx_ne_u16_e32 0, v3
	s_cbranch_execz .LBB0_16
; %bb.11:
	v_mov_b32_e32 v2, 0x7f800001
	s_mov_b32 s7, exec_lo
	v_cmpx_ne_u16_e32 0x80, v3
	s_cbranch_execz .LBB0_15
; %bb.12:
	v_bfe_u32 v4, v9, 11, 4
	v_bfe_u32 v2, v9, 8, 3
	v_mov_b32_e32 v3, 0
	s_mov_b32 s12, exec_lo
	s_delay_alu instid0(VALU_DEP_3)
	v_cmpx_eq_u32_e32 0, v4
; %bb.13:
	s_delay_alu instid0(VALU_DEP_3) | instskip(NEXT) | instid1(VALU_DEP_1)
	v_clz_i32_u32_e32 v4, v2
	v_min_u32_e32 v4, 32, v4
	s_delay_alu instid0(VALU_DEP_1) | instskip(SKIP_1) | instid1(VALU_DEP_2)
	v_subrev_nc_u32_e32 v6, 28, v4
	v_sub_nc_u32_e32 v4, 29, v4
	v_lshlrev_b64 v[2:3], v6, v[2:3]
	s_delay_alu instid0(VALU_DEP_1)
	v_and_b32_e32 v2, 7, v2
; %bb.14:
	s_or_b32 exec_lo, exec_lo, s12
	v_lshlrev_b32_e32 v3, 16, v9
	s_delay_alu instid0(VALU_DEP_2) | instskip(SKIP_1) | instid1(VALU_DEP_3)
	v_lshlrev_b32_e32 v2, 20, v2
	v_lshl_add_u32 v4, v4, 23, 0x3b800000
	v_and_b32_e32 v3, 0x80000000, v3
	s_delay_alu instid0(VALU_DEP_1)
	v_or3_b32 v2, v2, v3, v4
.LBB0_15:
	s_or_b32 exec_lo, exec_lo, s7
.LBB0_16:
	s_delay_alu instid0(SALU_CYCLE_1) | instskip(NEXT) | instid1(VALU_DEP_1)
	s_or_b32 exec_lo, exec_lo, s6
	v_and_b32_e32 v3, 0x7f800000, v2
	s_mov_b32 s6, exec_lo
                                        ; implicit-def: $vgpr6
	s_delay_alu instid0(VALU_DEP_1)
	v_cmpx_ne_u32_e32 0x7f800000, v3
	s_xor_b32 s6, exec_lo, s6
; %bb.17:
	v_bfe_u32 v3, v2, 16, 1
	s_delay_alu instid0(VALU_DEP_1)
	v_add3_u32 v6, v2, v3, 0x7fff
                                        ; implicit-def: $vgpr2
; %bb.18:
	s_and_not1_saveexec_b32 s6, s6
; %bb.19:
	v_and_b32_e32 v3, 0xffff, v2
	v_or_b32_e32 v4, 0x10000, v2
	s_delay_alu instid0(VALU_DEP_2) | instskip(NEXT) | instid1(VALU_DEP_2)
	v_cmp_eq_u32_e32 vcc_lo, 0, v3
	v_cndmask_b32_e32 v6, v4, v2, vcc_lo
; %bb.20:
	s_or_b32 exec_lo, exec_lo, s6
	v_lshrrev_b32_e32 v2, 16, v9
	s_mov_b32 s6, exec_lo
	s_delay_alu instid0(VALU_DEP_1) | instskip(NEXT) | instid1(VALU_DEP_1)
	v_dual_mov_b32 v2, 0 :: v_dual_and_b32 v3, 0xff, v2
	v_cmpx_ne_u16_e32 0, v3
	s_cbranch_execz .LBB0_26
; %bb.21:
	v_mov_b32_e32 v2, 0x7f800001
	s_mov_b32 s7, exec_lo
	v_cmpx_ne_u16_e32 0x80, v3
	s_cbranch_execz .LBB0_25
; %bb.22:
	v_bfe_u32 v4, v9, 19, 4
	v_bfe_u32 v2, v9, 16, 3
	v_mov_b32_e32 v3, 0
	s_mov_b32 s12, exec_lo
	s_delay_alu instid0(VALU_DEP_3)
	v_cmpx_eq_u32_e32 0, v4
; %bb.23:
	s_delay_alu instid0(VALU_DEP_3) | instskip(NEXT) | instid1(VALU_DEP_1)
	v_clz_i32_u32_e32 v4, v2
	v_min_u32_e32 v4, 32, v4
	s_delay_alu instid0(VALU_DEP_1) | instskip(SKIP_1) | instid1(VALU_DEP_2)
	v_subrev_nc_u32_e32 v10, 28, v4
	v_sub_nc_u32_e32 v4, 29, v4
	v_lshlrev_b64 v[2:3], v10, v[2:3]
	s_delay_alu instid0(VALU_DEP_1)
	v_and_b32_e32 v2, 7, v2
; %bb.24:
	s_or_b32 exec_lo, exec_lo, s12
	v_lshlrev_b32_e32 v3, 8, v9
	s_delay_alu instid0(VALU_DEP_2) | instskip(SKIP_1) | instid1(VALU_DEP_3)
	v_lshlrev_b32_e32 v2, 20, v2
	v_lshl_add_u32 v4, v4, 23, 0x3b800000
	v_and_b32_e32 v3, 0x80000000, v3
	s_delay_alu instid0(VALU_DEP_1)
	v_or3_b32 v2, v2, v3, v4
.LBB0_25:
	s_or_b32 exec_lo, exec_lo, s7
.LBB0_26:
	s_delay_alu instid0(SALU_CYCLE_1) | instskip(NEXT) | instid1(VALU_DEP_1)
	s_or_b32 exec_lo, exec_lo, s6
	v_and_b32_e32 v3, 0x7f800000, v2
	s_mov_b32 s6, exec_lo
                                        ; implicit-def: $vgpr4
	s_delay_alu instid0(VALU_DEP_1)
	v_cmpx_ne_u32_e32 0x7f800000, v3
	s_xor_b32 s6, exec_lo, s6
; %bb.27:
	v_bfe_u32 v3, v2, 16, 1
	s_delay_alu instid0(VALU_DEP_1)
	v_add3_u32 v4, v2, v3, 0x7fff
                                        ; implicit-def: $vgpr2
; %bb.28:
	s_and_not1_saveexec_b32 s6, s6
; %bb.29:
	v_and_b32_e32 v3, 0xffff, v2
	v_or_b32_e32 v4, 0x10000, v2
	s_delay_alu instid0(VALU_DEP_2) | instskip(NEXT) | instid1(VALU_DEP_2)
	v_cmp_eq_u32_e32 vcc_lo, 0, v3
	v_cndmask_b32_e32 v4, v4, v2, vcc_lo
; %bb.30:
	s_or_b32 exec_lo, exec_lo, s6
	s_load_b64 s[0:1], s[0:1], 0x20
	v_mov_b32_e32 v2, 0
	s_mov_b32 s6, exec_lo
	v_cmpx_lt_u32_e32 0xffffff, v9
	s_cbranch_execz .LBB0_36
; %bb.31:
	v_lshrrev_b32_e32 v10, 24, v9
	v_mov_b32_e32 v2, 0x7f800001
	s_mov_b32 s7, exec_lo
	s_delay_alu instid0(VALU_DEP_2)
	v_cmpx_ne_u32_e32 0x80, v10
	s_cbranch_execz .LBB0_35
; %bb.32:
	v_bfe_u32 v11, v9, 27, 4
	v_mov_b32_e32 v3, 0
	v_bfe_u32 v2, v9, 24, 3
	s_mov_b32 s12, exec_lo
	s_delay_alu instid0(VALU_DEP_3)
	v_cmpx_eq_u32_e32 0, v11
; %bb.33:
	s_delay_alu instid0(VALU_DEP_2) | instskip(NEXT) | instid1(VALU_DEP_1)
	v_clz_i32_u32_e32 v9, v2
	v_min_u32_e32 v9, 32, v9
	s_delay_alu instid0(VALU_DEP_1) | instskip(NEXT) | instid1(VALU_DEP_1)
	v_subrev_nc_u32_e32 v11, 28, v9
	v_lshlrev_b64 v[2:3], v11, v[2:3]
	v_sub_nc_u32_e32 v11, 29, v9
	s_delay_alu instid0(VALU_DEP_2)
	v_and_b32_e32 v2, 7, v2
; %bb.34:
	s_or_b32 exec_lo, exec_lo, s12
	v_lshlrev_b32_e32 v3, 24, v10
	s_delay_alu instid0(VALU_DEP_2) | instskip(SKIP_1) | instid1(VALU_DEP_3)
	v_lshlrev_b32_e32 v2, 20, v2
	v_lshl_add_u32 v9, v11, 23, 0x3b800000
	v_and_b32_e32 v3, 0x80000000, v3
	s_delay_alu instid0(VALU_DEP_1)
	v_or3_b32 v2, v2, v3, v9
.LBB0_35:
	s_or_b32 exec_lo, exec_lo, s7
.LBB0_36:
	s_delay_alu instid0(SALU_CYCLE_1) | instskip(NEXT) | instid1(VALU_DEP_1)
	s_or_b32 exec_lo, exec_lo, s6
	v_and_b32_e32 v3, 0x7f800000, v2
	s_delay_alu instid0(VALU_DEP_1) | instskip(SKIP_1) | instid1(SALU_CYCLE_1)
	v_cmp_ne_u32_e32 vcc_lo, 0x7f800000, v3
                                        ; implicit-def: $vgpr3
	s_and_saveexec_b32 s6, vcc_lo
	s_xor_b32 s6, exec_lo, s6
; %bb.37:
	v_bfe_u32 v3, v2, 16, 1
	s_delay_alu instid0(VALU_DEP_1)
	v_add3_u32 v3, v2, v3, 0x7fff
                                        ; implicit-def: $vgpr2
; %bb.38:
	s_and_not1_saveexec_b32 s6, s6
; %bb.39:
	v_and_b32_e32 v3, 0xffff, v2
	v_or_b32_e32 v9, 0x10000, v2
	s_delay_alu instid0(VALU_DEP_2) | instskip(NEXT) | instid1(VALU_DEP_2)
	v_cmp_eq_u32_e32 vcc_lo, 0, v3
	v_cndmask_b32_e32 v3, v9, v2, vcc_lo
; %bb.40:
	s_or_b32 exec_lo, exec_lo, s6
	s_load_b32 s6, s[10:11], 0x0
	s_waitcnt lgkmcnt(0)
	s_and_b32 s10, s6, 0x7f800000
	s_delay_alu instid0(SALU_CYCLE_1)
	s_cmp_lg_u32 s10, 0x7f800000
	s_cselect_b32 s7, -1, 0
	s_cmp_eq_u32 s10, 0x7f800000
	s_cbranch_scc1 .LBB0_42
; %bb.41:
	s_bfe_u32 s10, s6, 0x10010
	s_delay_alu instid0(SALU_CYCLE_1) | instskip(NEXT) | instid1(SALU_CYCLE_1)
	s_add_i32 s10, s6, s10
	s_add_i32 s11, s10, 0x7fff
	s_cbranch_execz .LBB0_43
	s_branch .LBB0_44
.LBB0_42:
                                        ; implicit-def: $sgpr11
.LBB0_43:
	s_and_b32 s10, s6, 0xffff
	s_or_b32 s11, s6, 0x10000
	s_cmp_eq_u32 s10, 0
	s_cselect_b32 s11, s6, s11
.LBB0_44:
	s_and_not1_b32 vcc_lo, exec_lo, s7
	s_cbranch_vccnz .LBB0_46
; %bb.45:
	s_bfe_u32 s7, s6, 0x10010
	s_delay_alu instid0(SALU_CYCLE_1) | instskip(NEXT) | instid1(SALU_CYCLE_1)
	s_add_i32 s7, s6, s7
	s_add_i32 s10, s7, 0x7fff
	s_cbranch_execz .LBB0_47
	s_branch .LBB0_48
.LBB0_46:
                                        ; implicit-def: $sgpr10
.LBB0_47:
	s_and_b32 s7, s6, 0xffff
	s_or_b32 s10, s6, 0x10000
	s_cmp_eq_u32 s7, 0
	s_cselect_b32 s10, s6, s10
.LBB0_48:
	s_load_b32 s0, s[0:1], 0x0
	s_waitcnt lgkmcnt(0)
	s_and_b32 s6, s0, 0x7f800000
	s_delay_alu instid0(SALU_CYCLE_1)
	s_cmp_lg_u32 s6, 0x7f800000
	s_cselect_b32 s1, -1, 0
	s_cmp_eq_u32 s6, 0x7f800000
	s_cbranch_scc1 .LBB0_50
; %bb.49:
	s_bfe_u32 s6, s0, 0x10010
	s_delay_alu instid0(SALU_CYCLE_1) | instskip(NEXT) | instid1(SALU_CYCLE_1)
	s_add_i32 s6, s0, s6
	s_addk_i32 s6, 0x7fff
	s_cbranch_execz .LBB0_51
	s_branch .LBB0_52
.LBB0_50:
                                        ; implicit-def: $sgpr6
.LBB0_51:
	s_and_b32 s6, s0, 0xffff
	s_or_b32 s7, s0, 0x10000
	s_cmp_eq_u32 s6, 0
	s_cselect_b32 s6, s0, s7
.LBB0_52:
	s_and_not1_b32 vcc_lo, exec_lo, s1
	s_cbranch_vccnz .LBB0_54
; %bb.53:
	s_bfe_u32 s1, s0, 0x10010
	s_delay_alu instid0(SALU_CYCLE_1) | instskip(NEXT) | instid1(SALU_CYCLE_1)
	s_add_i32 s1, s0, s1
	s_add_i32 s7, s1, 0x7fff
	s_cbranch_execz .LBB0_55
	s_branch .LBB0_56
.LBB0_54:
                                        ; implicit-def: $sgpr7
.LBB0_55:
	s_and_b32 s1, s0, 0xffff
	s_or_b32 s7, s0, 0x10000
	s_cmp_eq_u32 s1, 0
	s_cselect_b32 s7, s0, s7
.LBB0_56:
	v_and_b32_e32 v2, 0xffff0000, v5
	s_and_b32 s0, s11, 0xffff0000
	s_delay_alu instid0(VALU_DEP_1) | instid1(SALU_CYCLE_1)
	v_mul_f32_e32 v2, s0, v2
	s_delay_alu instid0(VALU_DEP_1) | instskip(NEXT) | instid1(VALU_DEP_1)
	v_and_b32_e32 v5, 0x7f800000, v2
	v_cmp_ne_u32_e32 vcc_lo, 0x7f800000, v5
                                        ; implicit-def: $vgpr5
	s_and_saveexec_b32 s1, vcc_lo
	s_delay_alu instid0(SALU_CYCLE_1)
	s_xor_b32 s1, exec_lo, s1
; %bb.57:
	v_bfe_u32 v5, v2, 16, 1
	s_delay_alu instid0(VALU_DEP_1)
	v_add3_u32 v5, v2, v5, 0x7fff
                                        ; implicit-def: $vgpr2
; %bb.58:
	s_and_not1_saveexec_b32 s1, s1
; %bb.59:
	v_and_b32_e32 v5, 0xffff, v2
	v_or_b32_e32 v9, 0x10000, v2
	s_delay_alu instid0(VALU_DEP_2) | instskip(NEXT) | instid1(VALU_DEP_2)
	v_cmp_eq_u32_e32 vcc_lo, 0, v5
	v_cndmask_b32_e32 v5, v9, v2, vcc_lo
; %bb.60:
	s_or_b32 exec_lo, exec_lo, s1
	v_and_b32_e32 v2, 0xffff0000, v6
	s_and_b32 s1, s10, 0xffff0000
	s_delay_alu instid0(VALU_DEP_1) | instid1(SALU_CYCLE_1)
	v_mul_f32_e32 v2, s1, v2
	s_delay_alu instid0(VALU_DEP_1) | instskip(NEXT) | instid1(VALU_DEP_1)
	v_and_b32_e32 v6, 0x7f800000, v2
	v_cmp_ne_u32_e32 vcc_lo, 0x7f800000, v6
                                        ; implicit-def: $vgpr6
	s_and_saveexec_b32 s10, vcc_lo
	s_delay_alu instid0(SALU_CYCLE_1)
	s_xor_b32 s10, exec_lo, s10
; %bb.61:
	v_bfe_u32 v6, v2, 16, 1
	s_delay_alu instid0(VALU_DEP_1)
	v_add3_u32 v6, v2, v6, 0x7fff
                                        ; implicit-def: $vgpr2
; %bb.62:
	s_and_not1_saveexec_b32 s10, s10
; %bb.63:
	v_and_b32_e32 v6, 0xffff, v2
	v_or_b32_e32 v9, 0x10000, v2
	s_delay_alu instid0(VALU_DEP_2) | instskip(NEXT) | instid1(VALU_DEP_2)
	v_cmp_eq_u32_e32 vcc_lo, 0, v6
	v_cndmask_b32_e32 v6, v9, v2, vcc_lo
; %bb.64:
	s_or_b32 exec_lo, exec_lo, s10
	v_and_b32_e32 v5, 0xffff0000, v5
	v_lshlrev_b32_e32 v1, 1, v1
	s_delay_alu instid0(VALU_DEP_1) | instskip(NEXT) | instid1(VALU_DEP_1)
	v_ashrrev_i32_e32 v2, 31, v1
	v_lshlrev_b64 v[1:2], 2, v[1:2]
	s_delay_alu instid0(VALU_DEP_1) | instskip(NEXT) | instid1(VALU_DEP_2)
	v_add_co_u32 v1, vcc_lo, s8, v1
	v_add_co_ci_u32_e32 v2, vcc_lo, s9, v2, vcc_lo
	global_load_b32 v9, v[1:2], off
	s_waitcnt vmcnt(0)
	v_lshlrev_b32_e32 v10, 16, v9
	s_delay_alu instid0(VALU_DEP_1) | instskip(NEXT) | instid1(VALU_DEP_1)
	v_add_f32_e32 v10, v5, v10
	v_and_b32_e32 v5, 0x7f800000, v10
	s_delay_alu instid0(VALU_DEP_1) | instskip(SKIP_1) | instid1(SALU_CYCLE_1)
	v_cmp_ne_u32_e32 vcc_lo, 0x7f800000, v5
                                        ; implicit-def: $vgpr5
	s_and_saveexec_b32 s8, vcc_lo
	s_xor_b32 s8, exec_lo, s8
; %bb.65:
	v_bfe_u32 v5, v10, 16, 1
	s_delay_alu instid0(VALU_DEP_1)
	v_add3_u32 v5, v10, v5, 0x7fff
                                        ; implicit-def: $vgpr10
; %bb.66:
	s_and_not1_saveexec_b32 s8, s8
; %bb.67:
	v_and_b32_e32 v5, 0xffff, v10
	v_or_b32_e32 v11, 0x10000, v10
	s_delay_alu instid0(VALU_DEP_2) | instskip(NEXT) | instid1(VALU_DEP_2)
	v_cmp_eq_u32_e32 vcc_lo, 0, v5
	v_cndmask_b32_e32 v5, v11, v10, vcc_lo
; %bb.68:
	s_or_b32 exec_lo, exec_lo, s8
	v_and_b32_e32 v6, 0xffff0000, v6
	v_and_b32_e32 v9, 0xffff0000, v9
	s_delay_alu instid0(VALU_DEP_1) | instskip(NEXT) | instid1(VALU_DEP_1)
	v_add_f32_e32 v9, v6, v9
	v_and_b32_e32 v6, 0x7f800000, v9
	s_delay_alu instid0(VALU_DEP_1) | instskip(SKIP_1) | instid1(SALU_CYCLE_1)
	v_cmp_ne_u32_e32 vcc_lo, 0x7f800000, v6
                                        ; implicit-def: $vgpr6
	s_and_saveexec_b32 s8, vcc_lo
	s_xor_b32 s8, exec_lo, s8
; %bb.69:
	v_bfe_u32 v6, v9, 16, 1
	s_delay_alu instid0(VALU_DEP_1)
	v_add3_u32 v6, v9, v6, 0x7fff
                                        ; implicit-def: $vgpr9
; %bb.70:
	s_and_not1_saveexec_b32 s8, s8
; %bb.71:
	v_and_b32_e32 v6, 0xffff, v9
	v_or_b32_e32 v10, 0x10000, v9
	s_delay_alu instid0(VALU_DEP_2) | instskip(NEXT) | instid1(VALU_DEP_2)
	v_cmp_eq_u32_e32 vcc_lo, 0, v6
	v_cndmask_b32_e32 v6, v10, v9, vcc_lo
; %bb.72:
	s_or_b32 exec_lo, exec_lo, s8
	v_and_b32_e32 v5, 0xffff0000, v5
	s_and_b32 s6, s6, 0xffff0000
	s_delay_alu instid0(VALU_DEP_1) | instid1(SALU_CYCLE_1)
	v_mul_f32_e32 v5, s6, v5
	s_delay_alu instid0(VALU_DEP_1) | instskip(NEXT) | instid1(VALU_DEP_1)
	v_and_b32_e32 v9, 0x7f800000, v5
	v_cmp_ne_u32_e32 vcc_lo, 0x7f800000, v9
                                        ; implicit-def: $vgpr9
	s_and_saveexec_b32 s8, vcc_lo
	s_delay_alu instid0(SALU_CYCLE_1)
	s_xor_b32 s8, exec_lo, s8
; %bb.73:
	v_bfe_u32 v9, v5, 16, 1
	s_delay_alu instid0(VALU_DEP_1)
	v_add3_u32 v9, v5, v9, 0x7fff
                                        ; implicit-def: $vgpr5
; %bb.74:
	s_and_not1_saveexec_b32 s8, s8
; %bb.75:
	v_and_b32_e32 v9, 0xffff, v5
	v_or_b32_e32 v10, 0x10000, v5
	s_delay_alu instid0(VALU_DEP_2) | instskip(NEXT) | instid1(VALU_DEP_2)
	v_cmp_eq_u32_e32 vcc_lo, 0, v9
	v_cndmask_b32_e32 v9, v10, v5, vcc_lo
; %bb.76:
	s_or_b32 exec_lo, exec_lo, s8
	v_and_b32_e32 v5, 0xffff0000, v6
	s_and_b32 s7, s7, 0xffff0000
	s_mov_b32 s8, exec_lo
                                        ; implicit-def: $vgpr10
	s_delay_alu instid0(VALU_DEP_1) | instskip(NEXT) | instid1(VALU_DEP_1)
	v_mul_f32_e32 v5, s7, v5
	v_and_b32_e32 v6, 0x7f800000, v5
	s_delay_alu instid0(VALU_DEP_1)
	v_cmpx_ne_u32_e32 0x7f800000, v6
	s_xor_b32 s8, exec_lo, s8
; %bb.77:
	v_bfe_u32 v6, v5, 16, 1
	s_delay_alu instid0(VALU_DEP_1)
	v_add3_u32 v10, v5, v6, 0x7fff
                                        ; implicit-def: $vgpr5
; %bb.78:
	s_and_not1_saveexec_b32 s8, s8
; %bb.79:
	v_and_b32_e32 v6, 0xffff, v5
	v_or_b32_e32 v10, 0x10000, v5
	s_delay_alu instid0(VALU_DEP_2) | instskip(NEXT) | instid1(VALU_DEP_2)
	v_cmp_eq_u32_e32 vcc_lo, 0, v6
	v_cndmask_b32_e32 v10, v10, v5, vcc_lo
; %bb.80:
	s_or_b32 exec_lo, exec_lo, s8
	v_and_b32_e32 v4, 0xffff0000, v4
	s_delay_alu instid0(VALU_DEP_1) | instskip(NEXT) | instid1(VALU_DEP_1)
	v_mul_f32_e32 v5, s0, v4
	v_and_b32_e32 v4, 0x7f800000, v5
	s_delay_alu instid0(VALU_DEP_1) | instskip(SKIP_1) | instid1(SALU_CYCLE_1)
	v_cmp_ne_u32_e32 vcc_lo, 0x7f800000, v4
                                        ; implicit-def: $vgpr4
	s_and_saveexec_b32 s0, vcc_lo
	s_xor_b32 s0, exec_lo, s0
; %bb.81:
	v_bfe_u32 v4, v5, 16, 1
	s_delay_alu instid0(VALU_DEP_1)
	v_add3_u32 v4, v5, v4, 0x7fff
                                        ; implicit-def: $vgpr5
; %bb.82:
	s_and_not1_saveexec_b32 s0, s0
; %bb.83:
	v_and_b32_e32 v4, 0xffff, v5
	v_or_b32_e32 v6, 0x10000, v5
	s_delay_alu instid0(VALU_DEP_2) | instskip(NEXT) | instid1(VALU_DEP_2)
	v_cmp_eq_u32_e32 vcc_lo, 0, v4
	v_cndmask_b32_e32 v4, v6, v5, vcc_lo
; %bb.84:
	s_or_b32 exec_lo, exec_lo, s0
	v_and_b32_e32 v3, 0xffff0000, v3
	s_delay_alu instid0(VALU_DEP_1) | instskip(NEXT) | instid1(VALU_DEP_1)
	v_mul_f32_e32 v5, s1, v3
	v_and_b32_e32 v3, 0x7f800000, v5
	s_delay_alu instid0(VALU_DEP_1) | instskip(SKIP_1) | instid1(SALU_CYCLE_1)
	v_cmp_ne_u32_e32 vcc_lo, 0x7f800000, v3
                                        ; implicit-def: $vgpr3
	s_and_saveexec_b32 s0, vcc_lo
	s_xor_b32 s0, exec_lo, s0
; %bb.85:
	v_bfe_u32 v3, v5, 16, 1
	s_delay_alu instid0(VALU_DEP_1)
	v_add3_u32 v3, v5, v3, 0x7fff
                                        ; implicit-def: $vgpr5
; %bb.86:
	s_and_not1_saveexec_b32 s0, s0
; %bb.87:
	v_and_b32_e32 v3, 0xffff, v5
	v_or_b32_e32 v6, 0x10000, v5
	s_delay_alu instid0(VALU_DEP_2) | instskip(NEXT) | instid1(VALU_DEP_2)
	v_cmp_eq_u32_e32 vcc_lo, 0, v3
	v_cndmask_b32_e32 v3, v6, v5, vcc_lo
; %bb.88:
	s_or_b32 exec_lo, exec_lo, s0
	global_load_b32 v2, v[1:2], off offset:4
	v_and_b32_e32 v1, 0xffff0000, v4
	s_waitcnt vmcnt(0)
	v_lshlrev_b32_e32 v4, 16, v2
	s_delay_alu instid0(VALU_DEP_1) | instskip(NEXT) | instid1(VALU_DEP_1)
	v_add_f32_e32 v4, v1, v4
	v_and_b32_e32 v1, 0x7f800000, v4
	s_delay_alu instid0(VALU_DEP_1) | instskip(SKIP_1) | instid1(SALU_CYCLE_1)
	v_cmp_ne_u32_e32 vcc_lo, 0x7f800000, v1
                                        ; implicit-def: $vgpr1
	s_and_saveexec_b32 s0, vcc_lo
	s_xor_b32 s0, exec_lo, s0
; %bb.89:
	v_bfe_u32 v1, v4, 16, 1
	s_delay_alu instid0(VALU_DEP_1)
	v_add3_u32 v1, v4, v1, 0x7fff
                                        ; implicit-def: $vgpr4
; %bb.90:
	s_and_not1_saveexec_b32 s0, s0
; %bb.91:
	v_and_b32_e32 v1, 0xffff, v4
	v_or_b32_e32 v5, 0x10000, v4
	s_delay_alu instid0(VALU_DEP_2) | instskip(NEXT) | instid1(VALU_DEP_2)
	v_cmp_eq_u32_e32 vcc_lo, 0, v1
	v_cndmask_b32_e32 v1, v5, v4, vcc_lo
; %bb.92:
	s_or_b32 exec_lo, exec_lo, s0
	v_and_b32_e32 v3, 0xffff0000, v3
	v_and_b32_e32 v2, 0xffff0000, v2
	s_delay_alu instid0(VALU_DEP_1) | instskip(NEXT) | instid1(VALU_DEP_1)
	v_add_f32_e32 v3, v3, v2
	v_and_b32_e32 v2, 0x7f800000, v3
	s_delay_alu instid0(VALU_DEP_1) | instskip(SKIP_1) | instid1(SALU_CYCLE_1)
	v_cmp_ne_u32_e32 vcc_lo, 0x7f800000, v2
                                        ; implicit-def: $vgpr2
	s_and_saveexec_b32 s0, vcc_lo
	s_xor_b32 s0, exec_lo, s0
; %bb.93:
	v_bfe_u32 v2, v3, 16, 1
	s_delay_alu instid0(VALU_DEP_1)
	v_add3_u32 v2, v3, v2, 0x7fff
                                        ; implicit-def: $vgpr3
; %bb.94:
	s_and_not1_saveexec_b32 s0, s0
; %bb.95:
	v_and_b32_e32 v2, 0xffff, v3
	v_or_b32_e32 v4, 0x10000, v3
	s_delay_alu instid0(VALU_DEP_2) | instskip(NEXT) | instid1(VALU_DEP_2)
	v_cmp_eq_u32_e32 vcc_lo, 0, v2
	v_cndmask_b32_e32 v2, v4, v3, vcc_lo
; %bb.96:
	s_or_b32 exec_lo, exec_lo, s0
	v_and_b32_e32 v1, 0xffff0000, v1
	s_mov_b32 s0, exec_lo
                                        ; implicit-def: $vgpr13
	s_delay_alu instid0(VALU_DEP_1) | instskip(NEXT) | instid1(VALU_DEP_1)
	v_mul_f32_e32 v1, s6, v1
	v_and_b32_e32 v3, 0x7f800000, v1
	s_delay_alu instid0(VALU_DEP_1)
	v_cmpx_ne_u32_e32 0x7f800000, v3
	s_xor_b32 s0, exec_lo, s0
; %bb.97:
	v_bfe_u32 v3, v1, 16, 1
	s_delay_alu instid0(VALU_DEP_1)
	v_add3_u32 v13, v1, v3, 0x7fff
                                        ; implicit-def: $vgpr1
; %bb.98:
	s_and_not1_saveexec_b32 s0, s0
; %bb.99:
	v_and_b32_e32 v3, 0xffff, v1
	v_or_b32_e32 v4, 0x10000, v1
	s_delay_alu instid0(VALU_DEP_2) | instskip(NEXT) | instid1(VALU_DEP_2)
	v_cmp_eq_u32_e32 vcc_lo, 0, v3
	v_cndmask_b32_e32 v13, v4, v1, vcc_lo
; %bb.100:
	s_or_b32 exec_lo, exec_lo, s0
	v_and_b32_e32 v1, 0xffff0000, v2
	s_mov_b32 s0, exec_lo
                                        ; implicit-def: $vgpr3
	s_delay_alu instid0(VALU_DEP_1) | instskip(NEXT) | instid1(VALU_DEP_1)
	v_mul_f32_e32 v1, s7, v1
	v_and_b32_e32 v2, 0x7f800000, v1
	s_delay_alu instid0(VALU_DEP_1)
	v_cmpx_ne_u32_e32 0x7f800000, v2
	s_xor_b32 s0, exec_lo, s0
; %bb.101:
	v_bfe_u32 v2, v1, 16, 1
	s_delay_alu instid0(VALU_DEP_1)
	v_add3_u32 v3, v1, v2, 0x7fff
                                        ; implicit-def: $vgpr1
; %bb.102:
	s_and_not1_saveexec_b32 s0, s0
; %bb.103:
	v_and_b32_e32 v2, 0xffff, v1
	v_or_b32_e32 v3, 0x10000, v1
	s_delay_alu instid0(VALU_DEP_2) | instskip(NEXT) | instid1(VALU_DEP_2)
	v_cmp_eq_u32_e32 vcc_lo, 0, v2
	v_cndmask_b32_e32 v3, v3, v1, vcc_lo
; %bb.104:
	s_or_b32 exec_lo, exec_lo, s0
	s_delay_alu instid0(VALU_DEP_1) | instskip(SKIP_1) | instid1(VALU_DEP_2)
	v_dual_mov_b32 v2, 0 :: v_dual_and_b32 v1, 0x7f800000, v3
	v_lshrrev_b32_e32 v12, 24, v3
	v_cmp_ne_u64_e32 vcc_lo, 0x7f800000, v[1:2]
	v_and_b32_e32 v1, 0x7fff0000, v3
	s_delay_alu instid0(VALU_DEP_3) | instskip(NEXT) | instid1(VALU_DEP_2)
	v_or_b32_e32 v11, 0x7f, v12
	v_cmp_gt_u64_e64 s0, 0x43700001, v[1:2]
	v_mov_b32_e32 v1, 0
	s_delay_alu instid0(VALU_DEP_2) | instskip(NEXT) | instid1(SALU_CYCLE_1)
	s_and_b32 s0, vcc_lo, s0
	s_and_saveexec_b32 s1, s0
	s_cbranch_execz .LBB0_114
; %bb.105:
	s_mov_b32 s6, exec_lo
	v_cmpx_lt_u32_e32 0xffff, v3
	s_cbranch_execz .LBB0_113
; %bb.106:
	v_bfe_u32 v1, v3, 23, 8
	v_dual_mov_b32 v5, 0 :: v_dual_and_b32 v6, 0x7f0000, v3
	s_mov_b32 s7, exec_lo
	s_delay_alu instid0(VALU_DEP_2) | instskip(SKIP_1) | instid1(VALU_DEP_3)
	v_sub_nc_u32_e32 v4, 0x78, v1
	v_cmp_gt_u32_e32 vcc_lo, 0x79, v1
	v_or_b32_e32 v14, 0x800000, v6
	s_delay_alu instid0(VALU_DEP_3) | instskip(SKIP_1) | instid1(VALU_DEP_2)
	v_dual_mov_b32 v15, v5 :: v_dual_cndmask_b32 v4, 0, v4
	v_cmp_eq_u32_e32 vcc_lo, 0, v1
	v_cndmask_b32_e64 v11, v4, 0x77, vcc_lo
	s_delay_alu instid0(VALU_DEP_1) | instskip(NEXT) | instid1(VALU_DEP_1)
	v_add_nc_u32_e32 v3, 20, v11
	v_lshlrev_b64 v[3:4], v3, -1
	v_cndmask_b32_e32 v4, v14, v6, vcc_lo
	s_delay_alu instid0(VALU_DEP_2) | instskip(NEXT) | instid1(VALU_DEP_1)
	v_not_b32_e32 v3, v3
	v_and_b32_e32 v14, v4, v3
	v_lshrrev_b64 v[3:4], v11, v[4:5]
	v_add_nc_u32_e32 v6, 19, v11
	s_delay_alu instid0(VALU_DEP_1) | instskip(NEXT) | instid1(VALU_DEP_3)
	v_lshlrev_b64 v[16:17], v6, 1
	v_dual_mov_b32 v6, v4 :: v_dual_mov_b32 v5, v3
	s_delay_alu instid0(VALU_DEP_2)
	v_cmpx_eq_u64_e64 v[14:15], v[16:17]
; %bb.107:
	v_bfe_u32 v5, v3, 20, 1
	s_delay_alu instid0(VALU_DEP_1) | instskip(NEXT) | instid1(VALU_DEP_1)
	v_add_co_u32 v5, s0, v3, v5
	v_add_co_u32 v5, s0, v5, -1
; %bb.108:
	s_or_b32 exec_lo, exec_lo, s7
	v_add_nc_u32_e32 v1, 0xffffff81, v1
	v_lshrrev_b32_e32 v6, 23, v3
	s_mov_b32 s0, exec_lo
	s_delay_alu instid0(VALU_DEP_2) | instskip(NEXT) | instid1(VALU_DEP_1)
	v_cndmask_b32_e64 v1, v1, 0xffffff82, vcc_lo
	v_add3_u32 v6, v11, v1, v6
	v_and_b32_e32 v1, 0xfffff, v5
	s_delay_alu instid0(VALU_DEP_2) | instskip(NEXT) | instid1(VALU_DEP_2)
	v_add_nc_u32_e32 v5, 7, v6
	v_add_co_u32 v3, vcc_lo, v1, v3
	v_add_co_ci_u32_e32 v4, vcc_lo, 0, v4, vcc_lo
                                        ; implicit-def: $vgpr1
	s_delay_alu instid0(VALU_DEP_3)
	v_cmpx_ne_u32_e32 0, v5
	s_xor_b32 s0, exec_lo, s0
; %bb.109:
	s_delay_alu instid0(VALU_DEP_2) | instskip(SKIP_1) | instid1(VALU_DEP_1)
	v_cmp_lt_u64_e32 vcc_lo, 0xffffff, v[3:4]
	v_add_nc_u32_e32 v1, 8, v6
	v_cndmask_b32_e32 v1, v5, v1, vcc_lo
	v_cndmask_b32_e64 v5, 0, 1, vcc_lo
	s_delay_alu instid0(VALU_DEP_1)
	v_lshrrev_b64 v[3:4], v5, v[3:4]
; %bb.110:
	s_and_not1_saveexec_b32 s0, s0
; %bb.111:
	s_delay_alu instid0(VALU_DEP_1)
	v_bfe_u32 v1, v3, 23, 1
; %bb.112:
	s_or_b32 exec_lo, exec_lo, s0
	s_delay_alu instid0(VALU_DEP_2) | instskip(NEXT) | instid1(VALU_DEP_2)
	v_lshrrev_b64 v[3:4], 20, v[3:4]
	v_cmp_gt_i32_e32 vcc_lo, 16, v1
	v_min_i32_e32 v5, 15, v1
	v_and_b32_e32 v6, 0x80, v12
	v_cmp_eq_u32_e64 s0, 0, v1
	v_dual_cndmask_b32 v4, 0, v4 :: v_dual_cndmask_b32 v3, 7, v3
	s_delay_alu instid0(VALU_DEP_4) | instskip(NEXT) | instid1(VALU_DEP_2)
	v_lshlrev_b32_e32 v5, 3, v5
	v_and_b32_e32 v11, 7, v3
	s_delay_alu instid0(VALU_DEP_3) | instskip(NEXT) | instid1(VALU_DEP_2)
	v_cmp_eq_u64_e32 vcc_lo, 0, v[3:4]
	v_or3_b32 v1, v5, v6, v11
	s_and_b32 s0, s0, vcc_lo
	s_delay_alu instid0(VALU_DEP_1) | instid1(SALU_CYCLE_1)
	v_cndmask_b32_e64 v1, v1, 0, s0
.LBB0_113:
	s_or_b32 exec_lo, exec_lo, s6
	s_delay_alu instid0(VALU_DEP_1)
	v_mov_b32_e32 v11, v1
.LBB0_114:
	s_or_b32 exec_lo, exec_lo, s1
	v_and_b32_e32 v1, 0x7f800000, v13
	v_lshrrev_b32_e32 v5, 24, v13
	s_delay_alu instid0(VALU_DEP_2) | instskip(SKIP_1) | instid1(VALU_DEP_3)
	v_cmp_ne_u64_e32 vcc_lo, 0x7f800000, v[1:2]
	v_and_b32_e32 v1, 0x7fff0000, v13
	v_or_b32_e32 v12, 0x7f, v5
	s_delay_alu instid0(VALU_DEP_2) | instskip(NEXT) | instid1(VALU_DEP_1)
	v_cmp_gt_u64_e64 s0, 0x43700001, v[1:2]
	s_and_b32 s0, vcc_lo, s0
	s_delay_alu instid0(SALU_CYCLE_1)
	s_and_saveexec_b32 s1, s0
	s_cbranch_execz .LBB0_124
; %bb.115:
	v_mov_b32_e32 v12, 0
	s_mov_b32 s6, exec_lo
	v_cmpx_lt_u32_e32 0xffff, v13
	s_cbranch_execz .LBB0_123
; %bb.116:
	v_bfe_u32 v6, v13, 23, 8
	v_dual_mov_b32 v3, 0 :: v_dual_and_b32 v4, 0x7f0000, v13
	s_mov_b32 s7, exec_lo
	s_delay_alu instid0(VALU_DEP_2) | instskip(SKIP_1) | instid1(VALU_DEP_3)
	v_sub_nc_u32_e32 v1, 0x78, v6
	v_cmp_gt_u32_e32 vcc_lo, 0x79, v6
	v_or_b32_e32 v13, 0x800000, v4
	s_delay_alu instid0(VALU_DEP_3) | instskip(SKIP_1) | instid1(VALU_DEP_2)
	v_dual_mov_b32 v14, v3 :: v_dual_cndmask_b32 v1, 0, v1
	v_cmp_eq_u32_e32 vcc_lo, 0, v6
	v_cndmask_b32_e64 v12, v1, 0x77, vcc_lo
	s_delay_alu instid0(VALU_DEP_1) | instskip(NEXT) | instid1(VALU_DEP_1)
	v_add_nc_u32_e32 v1, 20, v12
	v_lshlrev_b64 v[1:2], v1, -1
	v_cndmask_b32_e32 v2, v13, v4, vcc_lo
	s_delay_alu instid0(VALU_DEP_2) | instskip(NEXT) | instid1(VALU_DEP_1)
	v_not_b32_e32 v1, v1
	v_and_b32_e32 v13, v2, v1
	v_lshrrev_b64 v[1:2], v12, v[2:3]
	v_add_nc_u32_e32 v4, 19, v12
	s_delay_alu instid0(VALU_DEP_1) | instskip(NEXT) | instid1(VALU_DEP_3)
	v_lshlrev_b64 v[15:16], v4, 1
	v_dual_mov_b32 v4, v2 :: v_dual_mov_b32 v3, v1
	s_delay_alu instid0(VALU_DEP_2)
	v_cmpx_eq_u64_e64 v[13:14], v[15:16]
; %bb.117:
	v_bfe_u32 v3, v1, 20, 1
	s_delay_alu instid0(VALU_DEP_1) | instskip(NEXT) | instid1(VALU_DEP_1)
	v_add_co_u32 v3, s0, v1, v3
	v_add_co_u32 v3, s0, v3, -1
; %bb.118:
	s_or_b32 exec_lo, exec_lo, s7
	v_add_nc_u32_e32 v4, 0xffffff81, v6
	v_lshrrev_b32_e32 v6, 23, v1
	s_delay_alu instid0(VALU_DEP_3) | instskip(SKIP_1) | instid1(VALU_DEP_3)
	v_and_b32_e32 v3, 0xfffff, v3
	s_mov_b32 s0, exec_lo
	v_cndmask_b32_e64 v4, v4, 0xffffff82, vcc_lo
	s_delay_alu instid0(VALU_DEP_2) | instskip(SKIP_1) | instid1(VALU_DEP_3)
	v_add_co_u32 v1, vcc_lo, v3, v1
	v_add_co_ci_u32_e32 v2, vcc_lo, 0, v2, vcc_lo
	v_add3_u32 v4, v12, v4, v6
                                        ; implicit-def: $vgpr3
	s_delay_alu instid0(VALU_DEP_1) | instskip(NEXT) | instid1(VALU_DEP_1)
	v_add_nc_u32_e32 v6, 7, v4
	v_cmpx_ne_u32_e32 0, v6
	s_xor_b32 s0, exec_lo, s0
; %bb.119:
	v_cmp_lt_u64_e32 vcc_lo, 0xffffff, v[1:2]
	v_add_nc_u32_e32 v3, 8, v4
	v_cndmask_b32_e64 v4, 0, 1, vcc_lo
	s_delay_alu instid0(VALU_DEP_2) | instskip(NEXT) | instid1(VALU_DEP_2)
	v_cndmask_b32_e32 v3, v6, v3, vcc_lo
	v_lshrrev_b64 v[1:2], v4, v[1:2]
; %bb.120:
	s_and_not1_saveexec_b32 s0, s0
; %bb.121:
	s_delay_alu instid0(VALU_DEP_1)
	v_bfe_u32 v3, v1, 23, 1
; %bb.122:
	s_or_b32 exec_lo, exec_lo, s0
	s_delay_alu instid0(VALU_DEP_2) | instskip(NEXT) | instid1(VALU_DEP_2)
	v_lshrrev_b64 v[1:2], 20, v[1:2]
	v_cmp_gt_i32_e32 vcc_lo, 16, v3
	v_min_i32_e32 v4, 15, v3
	v_and_b32_e32 v5, 0x80, v5
	v_cmp_eq_u32_e64 s0, 0, v3
	v_dual_cndmask_b32 v2, 0, v2 :: v_dual_cndmask_b32 v1, 7, v1
	s_delay_alu instid0(VALU_DEP_4) | instskip(NEXT) | instid1(VALU_DEP_2)
	v_lshlrev_b32_e32 v4, 3, v4
	v_and_b32_e32 v6, 7, v1
	s_delay_alu instid0(VALU_DEP_2) | instskip(NEXT) | instid1(VALU_DEP_4)
	v_and_b32_e32 v4, 0xf8, v4
	v_cmp_eq_u64_e32 vcc_lo, 0, v[1:2]
	s_delay_alu instid0(VALU_DEP_2)
	v_or3_b32 v1, v4, v5, v6
	s_and_b32 s0, s0, vcc_lo
	s_delay_alu instid0(VALU_DEP_1) | instid1(SALU_CYCLE_1)
	v_cndmask_b32_e64 v12, v1, 0, s0
.LBB0_123:
	s_or_b32 exec_lo, exec_lo, s6
.LBB0_124:
	s_delay_alu instid0(SALU_CYCLE_1) | instskip(SKIP_2) | instid1(VALU_DEP_2)
	s_or_b32 exec_lo, exec_lo, s1
	v_dual_mov_b32 v2, 0 :: v_dual_and_b32 v1, 0x7f800000, v10
	v_lshrrev_b32_e32 v13, 24, v10
	v_cmp_ne_u64_e32 vcc_lo, 0x7f800000, v[1:2]
	v_and_b32_e32 v1, 0x7fff0000, v10
	s_delay_alu instid0(VALU_DEP_3) | instskip(NEXT) | instid1(VALU_DEP_2)
	v_or_b32_e32 v5, 0x7f, v13
	v_cmp_gt_u64_e64 s0, 0x43700001, v[1:2]
	v_mov_b32_e32 v1, 0
	s_delay_alu instid0(VALU_DEP_2) | instskip(NEXT) | instid1(SALU_CYCLE_1)
	s_and_b32 s0, vcc_lo, s0
	s_and_saveexec_b32 s1, s0
	s_cbranch_execz .LBB0_134
; %bb.125:
	s_mov_b32 s6, exec_lo
	v_cmpx_lt_u32_e32 0xffff, v10
	s_cbranch_execz .LBB0_133
; %bb.126:
	v_bfe_u32 v1, v10, 23, 8
	s_mov_b32 s7, exec_lo
	v_and_b32_e32 v6, 0x7f0000, v10
	s_delay_alu instid0(VALU_DEP_2) | instskip(SKIP_1) | instid1(VALU_DEP_3)
	v_sub_nc_u32_e32 v3, 0x78, v1
	v_cmp_gt_u32_e32 vcc_lo, 0x79, v1
	v_or_b32_e32 v10, 0x800000, v6
	s_delay_alu instid0(VALU_DEP_3) | instskip(SKIP_2) | instid1(VALU_DEP_3)
	v_cndmask_b32_e32 v3, 0, v3, vcc_lo
	v_cmp_eq_u32_e32 vcc_lo, 0, v1
	v_mov_b32_e32 v5, 0
	v_cndmask_b32_e64 v14, v3, 0x77, vcc_lo
	s_delay_alu instid0(VALU_DEP_1) | instskip(NEXT) | instid1(VALU_DEP_1)
	v_dual_mov_b32 v16, v5 :: v_dual_add_nc_u32 v3, 20, v14
	v_lshlrev_b64 v[3:4], v3, -1
	v_cndmask_b32_e32 v4, v10, v6, vcc_lo
	s_delay_alu instid0(VALU_DEP_2) | instskip(NEXT) | instid1(VALU_DEP_1)
	v_not_b32_e32 v3, v3
	v_and_b32_e32 v15, v4, v3
	v_lshrrev_b64 v[3:4], v14, v[4:5]
	v_add_nc_u32_e32 v6, 19, v14
	s_delay_alu instid0(VALU_DEP_1) | instskip(NEXT) | instid1(VALU_DEP_3)
	v_lshlrev_b64 v[17:18], v6, 1
	v_dual_mov_b32 v6, v4 :: v_dual_mov_b32 v5, v3
	s_delay_alu instid0(VALU_DEP_2)
	v_cmpx_eq_u64_e64 v[15:16], v[17:18]
; %bb.127:
	v_bfe_u32 v5, v3, 20, 1
	s_delay_alu instid0(VALU_DEP_1) | instskip(NEXT) | instid1(VALU_DEP_1)
	v_add_co_u32 v5, s0, v3, v5
	v_add_co_u32 v5, s0, v5, -1
; %bb.128:
	s_or_b32 exec_lo, exec_lo, s7
	v_add_nc_u32_e32 v1, 0xffffff81, v1
	v_lshrrev_b32_e32 v6, 23, v3
	s_mov_b32 s0, exec_lo
	s_delay_alu instid0(VALU_DEP_2) | instskip(NEXT) | instid1(VALU_DEP_1)
	v_cndmask_b32_e64 v1, v1, 0xffffff82, vcc_lo
	v_add3_u32 v6, v14, v1, v6
	v_and_b32_e32 v1, 0xfffff, v5
	s_delay_alu instid0(VALU_DEP_2) | instskip(NEXT) | instid1(VALU_DEP_2)
	v_add_nc_u32_e32 v5, 7, v6
	v_add_co_u32 v3, vcc_lo, v1, v3
	v_add_co_ci_u32_e32 v4, vcc_lo, 0, v4, vcc_lo
                                        ; implicit-def: $vgpr1
	s_delay_alu instid0(VALU_DEP_3)
	v_cmpx_ne_u32_e32 0, v5
	s_xor_b32 s0, exec_lo, s0
; %bb.129:
	s_delay_alu instid0(VALU_DEP_2) | instskip(SKIP_1) | instid1(VALU_DEP_1)
	v_cmp_lt_u64_e32 vcc_lo, 0xffffff, v[3:4]
	v_add_nc_u32_e32 v1, 8, v6
	v_cndmask_b32_e32 v1, v5, v1, vcc_lo
	v_cndmask_b32_e64 v5, 0, 1, vcc_lo
	s_delay_alu instid0(VALU_DEP_1)
	v_lshrrev_b64 v[3:4], v5, v[3:4]
; %bb.130:
	s_and_not1_saveexec_b32 s0, s0
; %bb.131:
	s_delay_alu instid0(VALU_DEP_1)
	v_bfe_u32 v1, v3, 23, 1
; %bb.132:
	s_or_b32 exec_lo, exec_lo, s0
	s_delay_alu instid0(VALU_DEP_2) | instskip(NEXT) | instid1(VALU_DEP_2)
	v_lshrrev_b64 v[3:4], 20, v[3:4]
	v_cmp_gt_i32_e32 vcc_lo, 16, v1
	v_min_i32_e32 v5, 15, v1
	v_and_b32_e32 v6, 0x80, v13
	v_cmp_eq_u32_e64 s0, 0, v1
	v_dual_cndmask_b32 v4, 0, v4 :: v_dual_cndmask_b32 v3, 7, v3
	s_delay_alu instid0(VALU_DEP_4) | instskip(NEXT) | instid1(VALU_DEP_2)
	v_lshlrev_b32_e32 v5, 3, v5
	v_and_b32_e32 v10, 7, v3
	s_delay_alu instid0(VALU_DEP_3) | instskip(NEXT) | instid1(VALU_DEP_2)
	v_cmp_eq_u64_e32 vcc_lo, 0, v[3:4]
	v_or3_b32 v1, v5, v6, v10
	s_and_b32 s0, s0, vcc_lo
	s_delay_alu instid0(VALU_DEP_1) | instid1(SALU_CYCLE_1)
	v_cndmask_b32_e64 v1, v1, 0, s0
.LBB0_133:
	s_or_b32 exec_lo, exec_lo, s6
	s_delay_alu instid0(VALU_DEP_1)
	v_mov_b32_e32 v5, v1
.LBB0_134:
	s_or_b32 exec_lo, exec_lo, s1
	v_and_b32_e32 v1, 0x7f800000, v9
	v_lshrrev_b32_e32 v6, 24, v9
	s_delay_alu instid0(VALU_DEP_2) | instskip(SKIP_1) | instid1(VALU_DEP_1)
	v_cmp_ne_u64_e32 vcc_lo, 0x7f800000, v[1:2]
	v_and_b32_e32 v1, 0x7fff0000, v9
	v_cmp_gt_u64_e64 s0, 0x43700001, v[1:2]
	s_delay_alu instid0(VALU_DEP_4) | instskip(NEXT) | instid1(VALU_DEP_2)
	v_or_b32_e32 v1, 0x7f, v6
	s_and_b32 s0, vcc_lo, s0
	s_delay_alu instid0(SALU_CYCLE_1)
	s_and_saveexec_b32 s1, s0
	s_cbranch_execz .LBB0_144
; %bb.135:
	v_mov_b32_e32 v1, 0
	s_mov_b32 s6, exec_lo
	v_cmpx_lt_u32_e32 0xffff, v9
	s_cbranch_execz .LBB0_143
; %bb.136:
	v_bfe_u32 v10, v9, 23, 8
	v_dual_mov_b32 v3, 0 :: v_dual_and_b32 v4, 0x7f0000, v9
	s_mov_b32 s7, exec_lo
	s_delay_alu instid0(VALU_DEP_2) | instskip(SKIP_1) | instid1(VALU_DEP_3)
	v_sub_nc_u32_e32 v1, 0x78, v10
	v_cmp_gt_u32_e32 vcc_lo, 0x79, v10
	v_or_b32_e32 v9, 0x800000, v4
	v_mov_b32_e32 v15, v3
	s_delay_alu instid0(VALU_DEP_4) | instskip(SKIP_1) | instid1(VALU_DEP_2)
	v_cndmask_b32_e32 v1, 0, v1, vcc_lo
	v_cmp_eq_u32_e32 vcc_lo, 0, v10
	v_cndmask_b32_e64 v13, v1, 0x77, vcc_lo
	s_delay_alu instid0(VALU_DEP_1) | instskip(NEXT) | instid1(VALU_DEP_1)
	v_add_nc_u32_e32 v1, 20, v13
	v_lshlrev_b64 v[1:2], v1, -1
	v_cndmask_b32_e32 v2, v9, v4, vcc_lo
	v_add_nc_u32_e32 v4, 19, v13
	s_delay_alu instid0(VALU_DEP_3) | instskip(NEXT) | instid1(VALU_DEP_2)
	v_not_b32_e32 v1, v1
	v_lshlrev_b64 v[16:17], v4, 1
	s_delay_alu instid0(VALU_DEP_2) | instskip(SKIP_1) | instid1(VALU_DEP_1)
	v_and_b32_e32 v14, v2, v1
	v_lshrrev_b64 v[1:2], v13, v[2:3]
	v_dual_mov_b32 v4, v2 :: v_dual_mov_b32 v3, v1
	s_delay_alu instid0(VALU_DEP_3)
	v_cmpx_eq_u64_e64 v[14:15], v[16:17]
; %bb.137:
	v_bfe_u32 v3, v1, 20, 1
	s_delay_alu instid0(VALU_DEP_1) | instskip(NEXT) | instid1(VALU_DEP_1)
	v_add_co_u32 v3, s0, v1, v3
	v_add_co_u32 v3, s0, v3, -1
; %bb.138:
	s_or_b32 exec_lo, exec_lo, s7
	v_add_nc_u32_e32 v4, 0xffffff81, v10
	v_lshrrev_b32_e32 v9, 23, v1
	s_delay_alu instid0(VALU_DEP_3) | instskip(SKIP_1) | instid1(VALU_DEP_3)
	v_and_b32_e32 v3, 0xfffff, v3
	s_mov_b32 s0, exec_lo
	v_cndmask_b32_e64 v4, v4, 0xffffff82, vcc_lo
	s_delay_alu instid0(VALU_DEP_2) | instskip(SKIP_1) | instid1(VALU_DEP_3)
	v_add_co_u32 v1, vcc_lo, v3, v1
	v_add_co_ci_u32_e32 v2, vcc_lo, 0, v2, vcc_lo
	v_add3_u32 v4, v13, v4, v9
                                        ; implicit-def: $vgpr3
	s_delay_alu instid0(VALU_DEP_1) | instskip(NEXT) | instid1(VALU_DEP_1)
	v_add_nc_u32_e32 v9, 7, v4
	v_cmpx_ne_u32_e32 0, v9
	s_xor_b32 s0, exec_lo, s0
; %bb.139:
	v_cmp_lt_u64_e32 vcc_lo, 0xffffff, v[1:2]
	v_add_nc_u32_e32 v3, 8, v4
	v_cndmask_b32_e64 v4, 0, 1, vcc_lo
	s_delay_alu instid0(VALU_DEP_2) | instskip(NEXT) | instid1(VALU_DEP_2)
	v_cndmask_b32_e32 v3, v9, v3, vcc_lo
	v_lshrrev_b64 v[1:2], v4, v[1:2]
; %bb.140:
	s_and_not1_saveexec_b32 s0, s0
; %bb.141:
	s_delay_alu instid0(VALU_DEP_1)
	v_bfe_u32 v3, v1, 23, 1
; %bb.142:
	s_or_b32 exec_lo, exec_lo, s0
	s_delay_alu instid0(VALU_DEP_2) | instskip(NEXT) | instid1(VALU_DEP_2)
	v_lshrrev_b64 v[1:2], 20, v[1:2]
	v_cmp_gt_i32_e32 vcc_lo, 16, v3
	v_min_i32_e32 v4, 15, v3
	v_and_b32_e32 v6, 0x80, v6
	v_cmp_eq_u32_e64 s0, 0, v3
	v_dual_cndmask_b32 v2, 0, v2 :: v_dual_cndmask_b32 v1, 7, v1
	s_delay_alu instid0(VALU_DEP_4) | instskip(NEXT) | instid1(VALU_DEP_2)
	v_lshlrev_b32_e32 v4, 3, v4
	v_and_b32_e32 v9, 7, v1
	s_delay_alu instid0(VALU_DEP_2) | instskip(NEXT) | instid1(VALU_DEP_4)
	v_and_b32_e32 v4, 0xf8, v4
	v_cmp_eq_u64_e32 vcc_lo, 0, v[1:2]
	s_delay_alu instid0(VALU_DEP_2)
	v_or3_b32 v1, v4, v6, v9
	s_and_b32 s0, s0, vcc_lo
	s_delay_alu instid0(VALU_DEP_1) | instid1(SALU_CYCLE_1)
	v_cndmask_b32_e64 v1, v1, 0, s0
.LBB0_143:
	s_or_b32 exec_lo, exec_lo, s6
.LBB0_144:
	s_delay_alu instid0(SALU_CYCLE_1) | instskip(SKIP_4) | instid1(VALU_DEP_2)
	s_or_b32 exec_lo, exec_lo, s1
	v_mad_u32_u24 v4, v8, 3, v7
	v_lshlrev_b32_e32 v5, 24, v5
	s_add_u32 s0, s4, s2
	s_addc_u32 s1, s5, 0
	v_mad_u64_u32 v[2:3], null, s3, v4, v[0:1]
	v_dual_mov_b32 v3, 0 :: v_dual_lshlrev_b32 v0, 8, v11
	v_lshlrev_b32_e32 v4, 16, v1
	s_delay_alu instid0(VALU_DEP_2) | instskip(NEXT) | instid1(VALU_DEP_3)
	v_and_or_b32 v6, 0xff00, v0, v12
	v_lshlrev_b64 v[0:1], 2, v[2:3]
	s_delay_alu instid0(VALU_DEP_2) | instskip(NEXT) | instid1(VALU_DEP_2)
	v_or3_b32 v2, v5, v4, v6
	v_add_co_u32 v0, vcc_lo, s0, v0
	s_delay_alu instid0(VALU_DEP_3)
	v_add_co_ci_u32_e32 v1, vcc_lo, s1, v1, vcc_lo
	global_store_b32 v[0:1], v2, off
	s_nop 0
	s_sendmsg sendmsg(MSG_DEALLOC_VGPRS)
	s_endpgm
	.section	.rodata,"a",@progbits
	.p2align	6, 0x0
	.amdhsa_kernel _Z22FP8TrtAddQKVBiasKernel21FP8TrtAddQKVBiasParamI19__hip_fp8_e4m3_fnuz14__hip_bfloat16E
		.amdhsa_group_segment_fixed_size 0
		.amdhsa_private_segment_fixed_size 0
		.amdhsa_kernarg_size 56
		.amdhsa_user_sgpr_count 15
		.amdhsa_user_sgpr_dispatch_ptr 0
		.amdhsa_user_sgpr_queue_ptr 0
		.amdhsa_user_sgpr_kernarg_segment_ptr 1
		.amdhsa_user_sgpr_dispatch_id 0
		.amdhsa_user_sgpr_private_segment_size 0
		.amdhsa_wavefront_size32 1
		.amdhsa_uses_dynamic_stack 0
		.amdhsa_enable_private_segment 0
		.amdhsa_system_sgpr_workgroup_id_x 1
		.amdhsa_system_sgpr_workgroup_id_y 0
		.amdhsa_system_sgpr_workgroup_id_z 0
		.amdhsa_system_sgpr_workgroup_info 0
		.amdhsa_system_vgpr_workitem_id 2
		.amdhsa_next_free_vgpr 19
		.amdhsa_next_free_sgpr 16
		.amdhsa_reserve_vcc 1
		.amdhsa_float_round_mode_32 0
		.amdhsa_float_round_mode_16_64 0
		.amdhsa_float_denorm_mode_32 3
		.amdhsa_float_denorm_mode_16_64 3
		.amdhsa_dx10_clamp 1
		.amdhsa_ieee_mode 1
		.amdhsa_fp16_overflow 0
		.amdhsa_workgroup_processor_mode 1
		.amdhsa_memory_ordered 1
		.amdhsa_forward_progress 0
		.amdhsa_shared_vgpr_count 0
		.amdhsa_exception_fp_ieee_invalid_op 0
		.amdhsa_exception_fp_denorm_src 0
		.amdhsa_exception_fp_ieee_div_zero 0
		.amdhsa_exception_fp_ieee_overflow 0
		.amdhsa_exception_fp_ieee_underflow 0
		.amdhsa_exception_fp_ieee_inexact 0
		.amdhsa_exception_int_div_zero 0
	.end_amdhsa_kernel
	.text
.Lfunc_end0:
	.size	_Z22FP8TrtAddQKVBiasKernel21FP8TrtAddQKVBiasParamI19__hip_fp8_e4m3_fnuz14__hip_bfloat16E, .Lfunc_end0-_Z22FP8TrtAddQKVBiasKernel21FP8TrtAddQKVBiasParamI19__hip_fp8_e4m3_fnuz14__hip_bfloat16E
                                        ; -- End function
	.section	.AMDGPU.csdata,"",@progbits
; Kernel info:
; codeLenInByte = 5196
; NumSgprs: 18
; NumVgprs: 19
; ScratchSize: 0
; MemoryBound: 0
; FloatMode: 240
; IeeeMode: 1
; LDSByteSize: 0 bytes/workgroup (compile time only)
; SGPRBlocks: 2
; VGPRBlocks: 2
; NumSGPRsForWavesPerEU: 18
; NumVGPRsForWavesPerEU: 19
; Occupancy: 16
; WaveLimiterHint : 0
; COMPUTE_PGM_RSRC2:SCRATCH_EN: 0
; COMPUTE_PGM_RSRC2:USER_SGPR: 15
; COMPUTE_PGM_RSRC2:TRAP_HANDLER: 0
; COMPUTE_PGM_RSRC2:TGID_X_EN: 1
; COMPUTE_PGM_RSRC2:TGID_Y_EN: 0
; COMPUTE_PGM_RSRC2:TGID_Z_EN: 0
; COMPUTE_PGM_RSRC2:TIDIG_COMP_CNT: 2
	.text
	.p2alignl 7, 3214868480
	.fill 96, 4, 3214868480
	.type	__hip_cuid_5c8d494326b96384,@object ; @__hip_cuid_5c8d494326b96384
	.section	.bss,"aw",@nobits
	.globl	__hip_cuid_5c8d494326b96384
__hip_cuid_5c8d494326b96384:
	.byte	0                               ; 0x0
	.size	__hip_cuid_5c8d494326b96384, 1

	.ident	"AMD clang version 19.0.0git (https://github.com/RadeonOpenCompute/llvm-project roc-6.4.0 25133 c7fe45cf4b819c5991fe208aaa96edf142730f1d)"
	.section	".note.GNU-stack","",@progbits
	.addrsig
	.addrsig_sym __hip_cuid_5c8d494326b96384
	.amdgpu_metadata
---
amdhsa.kernels:
  - .args:
      - .offset:         0
        .size:           56
        .value_kind:     by_value
    .group_segment_fixed_size: 0
    .kernarg_segment_align: 8
    .kernarg_segment_size: 56
    .language:       OpenCL C
    .language_version:
      - 2
      - 0
    .max_flat_workgroup_size: 1024
    .name:           _Z22FP8TrtAddQKVBiasKernel21FP8TrtAddQKVBiasParamI19__hip_fp8_e4m3_fnuz14__hip_bfloat16E
    .private_segment_fixed_size: 0
    .sgpr_count:     18
    .sgpr_spill_count: 0
    .symbol:         _Z22FP8TrtAddQKVBiasKernel21FP8TrtAddQKVBiasParamI19__hip_fp8_e4m3_fnuz14__hip_bfloat16E.kd
    .uniform_work_group_size: 1
    .uses_dynamic_stack: false
    .vgpr_count:     19
    .vgpr_spill_count: 0
    .wavefront_size: 32
    .workgroup_processor_mode: 1
amdhsa.target:   amdgcn-amd-amdhsa--gfx1100
amdhsa.version:
  - 1
  - 2
...

	.end_amdgpu_metadata
